;; amdgpu-corpus repo=ROCm/rocFFT kind=compiled arch=gfx906 opt=O3
	.text
	.amdgcn_target "amdgcn-amd-amdhsa--gfx906"
	.amdhsa_code_object_version 6
	.protected	fft_rtc_back_len200_factors_10_10_2_wgs_60_tpt_20_halfLds_half_op_CI_CI_unitstride_sbrr_R2C_dirReg ; -- Begin function fft_rtc_back_len200_factors_10_10_2_wgs_60_tpt_20_halfLds_half_op_CI_CI_unitstride_sbrr_R2C_dirReg
	.globl	fft_rtc_back_len200_factors_10_10_2_wgs_60_tpt_20_halfLds_half_op_CI_CI_unitstride_sbrr_R2C_dirReg
	.p2align	8
	.type	fft_rtc_back_len200_factors_10_10_2_wgs_60_tpt_20_halfLds_half_op_CI_CI_unitstride_sbrr_R2C_dirReg,@function
fft_rtc_back_len200_factors_10_10_2_wgs_60_tpt_20_halfLds_half_op_CI_CI_unitstride_sbrr_R2C_dirReg: ; @fft_rtc_back_len200_factors_10_10_2_wgs_60_tpt_20_halfLds_half_op_CI_CI_unitstride_sbrr_R2C_dirReg
; %bb.0:
	v_mul_u32_u24_e32 v1, 0xccd, v0
	s_load_dwordx4 s[8:11], s[4:5], 0x58
	s_load_dwordx4 s[12:15], s[4:5], 0x0
	;; [unrolled: 1-line block ×3, first 2 shown]
	v_lshrrev_b32_e32 v1, 16, v1
	v_mad_u64_u32 v[5:6], s[0:1], s6, 3, v[1:2]
	v_mov_b32_e32 v7, 0
	s_waitcnt lgkmcnt(0)
	v_cmp_lt_u64_e64 s[0:1], s[14:15], 2
	v_mov_b32_e32 v15, 0
	v_mov_b32_e32 v6, v7
	;; [unrolled: 1-line block ×5, first 2 shown]
	s_and_b64 vcc, exec, s[0:1]
	v_mov_b32_e32 v2, v16
	v_mov_b32_e32 v4, v6
	s_cbranch_vccnz .LBB0_8
; %bb.1:
	s_load_dwordx2 s[0:1], s[4:5], 0x10
	s_add_u32 s2, s18, 8
	s_addc_u32 s3, s19, 0
	s_add_u32 s6, s16, 8
	s_addc_u32 s7, s17, 0
	v_mov_b32_e32 v15, 0
	s_waitcnt lgkmcnt(0)
	s_add_u32 s20, s0, 8
	v_mov_b32_e32 v16, 0
	v_mov_b32_e32 v1, v15
	;; [unrolled: 1-line block ×3, first 2 shown]
	s_addc_u32 s21, s1, 0
	s_mov_b64 s[22:23], 1
	v_mov_b32_e32 v2, v16
	v_mov_b32_e32 v9, v5
.LBB0_2:                                ; =>This Inner Loop Header: Depth=1
	s_load_dwordx2 s[24:25], s[20:21], 0x0
                                        ; implicit-def: $vgpr3_vgpr4
	s_waitcnt lgkmcnt(0)
	v_or_b32_e32 v8, s25, v10
	v_cmp_ne_u64_e32 vcc, 0, v[7:8]
	s_and_saveexec_b64 s[0:1], vcc
	s_xor_b64 s[26:27], exec, s[0:1]
	s_cbranch_execz .LBB0_4
; %bb.3:                                ;   in Loop: Header=BB0_2 Depth=1
	v_cvt_f32_u32_e32 v3, s24
	v_cvt_f32_u32_e32 v4, s25
	s_sub_u32 s0, 0, s24
	s_subb_u32 s1, 0, s25
	v_mac_f32_e32 v3, 0x4f800000, v4
	v_rcp_f32_e32 v3, v3
	v_mul_f32_e32 v3, 0x5f7ffffc, v3
	v_mul_f32_e32 v4, 0x2f800000, v3
	v_trunc_f32_e32 v4, v4
	v_mac_f32_e32 v3, 0xcf800000, v4
	v_cvt_u32_f32_e32 v4, v4
	v_cvt_u32_f32_e32 v3, v3
	v_mul_lo_u32 v6, s0, v4
	v_mul_hi_u32 v8, s0, v3
	v_mul_lo_u32 v12, s1, v3
	v_mul_lo_u32 v11, s0, v3
	v_add_u32_e32 v6, v8, v6
	v_add_u32_e32 v6, v6, v12
	v_mul_hi_u32 v8, v3, v11
	v_mul_lo_u32 v12, v3, v6
	v_mul_hi_u32 v14, v3, v6
	v_mul_hi_u32 v13, v4, v11
	v_mul_lo_u32 v11, v4, v11
	v_mul_hi_u32 v17, v4, v6
	v_add_co_u32_e32 v8, vcc, v8, v12
	v_addc_co_u32_e32 v12, vcc, 0, v14, vcc
	v_mul_lo_u32 v6, v4, v6
	v_add_co_u32_e32 v8, vcc, v8, v11
	v_addc_co_u32_e32 v8, vcc, v12, v13, vcc
	v_addc_co_u32_e32 v11, vcc, 0, v17, vcc
	v_add_co_u32_e32 v6, vcc, v8, v6
	v_addc_co_u32_e32 v8, vcc, 0, v11, vcc
	v_add_co_u32_e32 v3, vcc, v3, v6
	v_addc_co_u32_e32 v4, vcc, v4, v8, vcc
	v_mul_lo_u32 v6, s0, v4
	v_mul_hi_u32 v8, s0, v3
	v_mul_lo_u32 v11, s1, v3
	v_mul_lo_u32 v12, s0, v3
	v_add_u32_e32 v6, v8, v6
	v_add_u32_e32 v6, v6, v11
	v_mul_lo_u32 v13, v3, v6
	v_mul_hi_u32 v14, v3, v12
	v_mul_hi_u32 v17, v3, v6
	;; [unrolled: 1-line block ×3, first 2 shown]
	v_mul_lo_u32 v12, v4, v12
	v_mul_hi_u32 v8, v4, v6
	v_add_co_u32_e32 v13, vcc, v14, v13
	v_addc_co_u32_e32 v14, vcc, 0, v17, vcc
	v_mul_lo_u32 v6, v4, v6
	v_add_co_u32_e32 v12, vcc, v13, v12
	v_addc_co_u32_e32 v11, vcc, v14, v11, vcc
	v_addc_co_u32_e32 v8, vcc, 0, v8, vcc
	v_add_co_u32_e32 v6, vcc, v11, v6
	v_addc_co_u32_e32 v8, vcc, 0, v8, vcc
	v_add_co_u32_e32 v6, vcc, v3, v6
	v_addc_co_u32_e32 v8, vcc, v4, v8, vcc
	v_mad_u64_u32 v[3:4], s[0:1], v9, v8, 0
	v_mul_hi_u32 v11, v9, v6
	v_add_co_u32_e32 v13, vcc, v11, v3
	v_addc_co_u32_e32 v14, vcc, 0, v4, vcc
	v_mad_u64_u32 v[3:4], s[0:1], v10, v6, 0
	v_mad_u64_u32 v[11:12], s[0:1], v10, v8, 0
	v_add_co_u32_e32 v3, vcc, v13, v3
	v_addc_co_u32_e32 v3, vcc, v14, v4, vcc
	v_addc_co_u32_e32 v4, vcc, 0, v12, vcc
	v_add_co_u32_e32 v6, vcc, v3, v11
	v_addc_co_u32_e32 v8, vcc, 0, v4, vcc
	v_mul_lo_u32 v11, s25, v6
	v_mul_lo_u32 v12, s24, v8
	v_mad_u64_u32 v[3:4], s[0:1], s24, v6, 0
	v_add3_u32 v4, v4, v12, v11
	v_sub_u32_e32 v11, v10, v4
	v_mov_b32_e32 v12, s25
	v_sub_co_u32_e32 v3, vcc, v9, v3
	v_subb_co_u32_e64 v11, s[0:1], v11, v12, vcc
	v_subrev_co_u32_e64 v12, s[0:1], s24, v3
	v_subbrev_co_u32_e64 v11, s[0:1], 0, v11, s[0:1]
	v_cmp_le_u32_e64 s[0:1], s25, v11
	v_cndmask_b32_e64 v13, 0, -1, s[0:1]
	v_cmp_le_u32_e64 s[0:1], s24, v12
	v_cndmask_b32_e64 v12, 0, -1, s[0:1]
	v_cmp_eq_u32_e64 s[0:1], s25, v11
	v_cndmask_b32_e64 v11, v13, v12, s[0:1]
	v_add_co_u32_e64 v12, s[0:1], 2, v6
	v_addc_co_u32_e64 v13, s[0:1], 0, v8, s[0:1]
	v_add_co_u32_e64 v14, s[0:1], 1, v6
	v_addc_co_u32_e64 v17, s[0:1], 0, v8, s[0:1]
	v_subb_co_u32_e32 v4, vcc, v10, v4, vcc
	v_cmp_ne_u32_e64 s[0:1], 0, v11
	v_cmp_le_u32_e32 vcc, s25, v4
	v_cndmask_b32_e64 v11, v17, v13, s[0:1]
	v_cndmask_b32_e64 v13, 0, -1, vcc
	v_cmp_le_u32_e32 vcc, s24, v3
	v_cndmask_b32_e64 v3, 0, -1, vcc
	v_cmp_eq_u32_e32 vcc, s25, v4
	v_cndmask_b32_e32 v3, v13, v3, vcc
	v_cmp_ne_u32_e32 vcc, 0, v3
	v_cndmask_b32_e64 v3, v14, v12, s[0:1]
	v_cndmask_b32_e32 v4, v8, v11, vcc
	v_cndmask_b32_e32 v3, v6, v3, vcc
.LBB0_4:                                ;   in Loop: Header=BB0_2 Depth=1
	s_andn2_saveexec_b64 s[0:1], s[26:27]
	s_cbranch_execz .LBB0_6
; %bb.5:                                ;   in Loop: Header=BB0_2 Depth=1
	v_cvt_f32_u32_e32 v3, s24
	s_sub_i32 s26, 0, s24
	v_rcp_iflag_f32_e32 v3, v3
	v_mul_f32_e32 v3, 0x4f7ffffe, v3
	v_cvt_u32_f32_e32 v3, v3
	v_mul_lo_u32 v4, s26, v3
	v_mul_hi_u32 v4, v3, v4
	v_add_u32_e32 v3, v3, v4
	v_mul_hi_u32 v3, v9, v3
	v_mul_lo_u32 v4, v3, s24
	v_add_u32_e32 v6, 1, v3
	v_sub_u32_e32 v4, v9, v4
	v_subrev_u32_e32 v8, s24, v4
	v_cmp_le_u32_e32 vcc, s24, v4
	v_cndmask_b32_e32 v4, v4, v8, vcc
	v_cndmask_b32_e32 v3, v3, v6, vcc
	v_add_u32_e32 v6, 1, v3
	v_cmp_le_u32_e32 vcc, s24, v4
	v_cndmask_b32_e32 v3, v3, v6, vcc
	v_mov_b32_e32 v4, v7
.LBB0_6:                                ;   in Loop: Header=BB0_2 Depth=1
	s_or_b64 exec, exec, s[0:1]
	v_mul_lo_u32 v6, v4, s24
	v_mul_lo_u32 v8, v3, s25
	v_mad_u64_u32 v[11:12], s[0:1], v3, s24, 0
	s_load_dwordx2 s[0:1], s[6:7], 0x0
	s_load_dwordx2 s[24:25], s[2:3], 0x0
	v_add3_u32 v6, v12, v8, v6
	v_sub_co_u32_e32 v8, vcc, v9, v11
	v_subb_co_u32_e32 v6, vcc, v10, v6, vcc
	s_waitcnt lgkmcnt(0)
	v_mul_lo_u32 v9, s0, v6
	v_mul_lo_u32 v10, s1, v8
	v_mad_u64_u32 v[15:16], s[0:1], s0, v8, v[15:16]
	s_add_u32 s22, s22, 1
	s_addc_u32 s23, s23, 0
	s_add_u32 s2, s2, 8
	v_mul_lo_u32 v6, s24, v6
	v_mul_lo_u32 v11, s25, v8
	v_mad_u64_u32 v[1:2], s[0:1], s24, v8, v[1:2]
	v_add3_u32 v16, v10, v16, v9
	s_addc_u32 s3, s3, 0
	v_mov_b32_e32 v8, s14
	s_add_u32 s6, s6, 8
	v_mov_b32_e32 v9, s15
	s_addc_u32 s7, s7, 0
	v_cmp_ge_u64_e32 vcc, s[22:23], v[8:9]
	s_add_u32 s20, s20, 8
	v_add3_u32 v2, v11, v2, v6
	s_addc_u32 s21, s21, 0
	s_cbranch_vccnz .LBB0_8
; %bb.7:                                ;   in Loop: Header=BB0_2 Depth=1
	v_mov_b32_e32 v10, v4
	v_mov_b32_e32 v9, v3
	s_branch .LBB0_2
.LBB0_8:
	s_mov_b32 s2, 0xaaaaaaab
	s_load_dwordx2 s[0:1], s[4:5], 0x28
	v_mul_hi_u32 v6, v5, s2
	s_lshl_b64 s[6:7], s[14:15], 3
	s_add_u32 s2, s18, s6
	s_addc_u32 s3, s19, s7
	v_lshrrev_b32_e32 v6, 1, v6
	v_lshl_add_u32 v6, v6, 1, v6
	s_waitcnt lgkmcnt(0)
	v_cmp_gt_u64_e32 vcc, s[0:1], v[3:4]
	v_cmp_le_u64_e64 s[0:1], s[0:1], v[3:4]
	v_sub_u32_e32 v17, v5, v6
                                        ; implicit-def: $vgpr5
                                        ; implicit-def: $vgpr7
                                        ; implicit-def: $vgpr9
                                        ; implicit-def: $vgpr11
                                        ; implicit-def: $vgpr13
	s_and_saveexec_b64 s[4:5], s[0:1]
	s_xor_b64 s[0:1], exec, s[4:5]
	s_cbranch_execz .LBB0_10
; %bb.9:
	s_mov_b32 s4, 0xccccccd
	v_mul_hi_u32 v5, v0, s4
	v_mov_b32_e32 v6, 0
	v_mov_b32_e32 v8, v6
	;; [unrolled: 1-line block ×3, first 2 shown]
	v_mul_u32_u24_e32 v5, 20, v5
	v_sub_u32_e32 v5, v0, v5
	v_add_u32_e32 v7, 20, v5
	v_add_u32_e32 v9, 40, v5
	;; [unrolled: 1-line block ×4, first 2 shown]
	v_mov_b32_e32 v12, v6
	v_mov_b32_e32 v14, v6
                                        ; implicit-def: $vgpr0
                                        ; implicit-def: $vgpr15_vgpr16
.LBB0_10:
	s_or_saveexec_b64 s[4:5], s[0:1]
	v_mul_u32_u24_e32 v17, 0xc9, v17
	v_lshlrev_b32_e32 v20, 2, v17
	s_xor_b64 exec, exec, s[4:5]
	s_cbranch_execz .LBB0_12
; %bb.11:
	s_add_u32 s0, s16, s6
	s_addc_u32 s1, s17, s7
	s_load_dwordx2 s[0:1], s[0:1], 0x0
	s_mov_b32 s6, 0xccccccd
	v_mul_hi_u32 v5, v0, s6
	s_waitcnt lgkmcnt(0)
	v_mul_lo_u32 v8, s1, v3
	v_mul_lo_u32 v9, s0, v4
	v_mad_u64_u32 v[6:7], s[0:1], s0, v3, 0
	v_mul_u32_u24_e32 v5, 20, v5
	v_sub_u32_e32 v5, v0, v5
	v_add3_u32 v7, v7, v9, v8
	v_lshlrev_b64 v[6:7], 2, v[6:7]
	v_mov_b32_e32 v0, s9
	v_add_co_u32_e64 v8, s[0:1], s8, v6
	v_addc_co_u32_e64 v0, s[0:1], v0, v7, s[0:1]
	v_lshlrev_b64 v[6:7], 2, v[15:16]
	v_lshlrev_b32_e32 v15, 2, v5
	v_add_co_u32_e64 v6, s[0:1], v8, v6
	v_addc_co_u32_e64 v0, s[0:1], v0, v7, s[0:1]
	v_add_co_u32_e64 v6, s[0:1], v6, v15
	v_addc_co_u32_e64 v7, s[0:1], 0, v0, s[0:1]
	global_load_dword v0, v[6:7], off
	global_load_dword v16, v[6:7], off offset:80
	global_load_dword v17, v[6:7], off offset:160
	;; [unrolled: 1-line block ×9, first 2 shown]
	v_mov_b32_e32 v6, 0
	v_mov_b32_e32 v8, v6
	v_mov_b32_e32 v10, v6
	v_mov_b32_e32 v12, v6
	v_mov_b32_e32 v14, v6
	v_add_u32_e32 v7, 20, v5
	v_add_u32_e32 v9, 40, v5
	v_add_u32_e32 v11, 60, v5
	v_add_u32_e32 v13, 0x50, v5
	v_add3_u32 v15, 0, v20, v15
	s_waitcnt vmcnt(8)
	ds_write2_b32 v15, v0, v16 offset1:20
	s_waitcnt vmcnt(6)
	ds_write2_b32 v15, v17, v18 offset0:40 offset1:60
	s_waitcnt vmcnt(4)
	ds_write2_b32 v15, v19, v21 offset0:80 offset1:100
	;; [unrolled: 2-line block ×4, first 2 shown]
.LBB0_12:
	s_or_b64 exec, exec, s[4:5]
	v_lshlrev_b32_e32 v18, 2, v5
	v_add_u32_e32 v0, 0, v20
	v_add3_u32 v19, 0, v18, v20
	s_load_dwordx2 s[2:3], s[2:3], 0x0
	s_waitcnt lgkmcnt(0)
	; wave barrier
	s_waitcnt lgkmcnt(0)
	v_add_u32_e32 v17, v0, v18
	ds_read2_b32 v[21:22], v19 offset0:20 offset1:40
	ds_read2_b32 v[23:24], v19 offset0:60 offset1:80
	;; [unrolled: 1-line block ×3, first 2 shown]
	ds_read_b32 v16, v17
	ds_read2_b32 v[27:28], v19 offset0:140 offset1:160
	s_mov_b32 s7, 0xbb9c
	s_movk_i32 s5, 0x3b9c
	s_waitcnt lgkmcnt(2)
	v_add_f16_e32 v30, v24, v26
	s_waitcnt lgkmcnt(1)
	v_fma_f16 v30, v30, -0.5, v16
	s_waitcnt lgkmcnt(0)
	v_sub_f16_sdwa v31, v22, v28 dst_sel:DWORD dst_unused:UNUSED_PAD src0_sel:WORD_1 src1_sel:WORD_1
	v_fma_f16 v32, v31, s7, v30
	v_sub_f16_sdwa v33, v24, v26 dst_sel:DWORD dst_unused:UNUSED_PAD src0_sel:WORD_1 src1_sel:WORD_1
	s_mov_b32 s6, 0xb8b4
	v_sub_f16_e32 v34, v28, v26
	v_sub_f16_e32 v35, v22, v24
	v_fma_f16 v30, v31, s5, v30
	s_movk_i32 s4, 0x38b4
	v_fma_f16 v32, v33, s6, v32
	v_add_f16_e32 v34, v35, v34
	s_movk_i32 s8, 0x34f2
	v_fma_f16 v30, v33, s4, v30
	v_fma_f16 v32, v34, s8, v32
	v_fma_f16 v30, v34, s8, v30
	v_add_f16_e32 v34, v22, v28
	v_fma_f16 v34, v34, -0.5, v16
	v_fma_f16 v35, v33, s5, v34
	v_sub_f16_e32 v36, v26, v28
	v_sub_f16_e32 v37, v24, v22
	v_fma_f16 v33, v33, s7, v34
	v_fma_f16 v35, v31, s6, v35
	v_add_f16_e32 v36, v37, v36
	v_fma_f16 v31, v31, s4, v33
	v_pk_add_f16 v33, v16, v22
	v_add_f16_sdwa v34, v24, v26 dst_sel:DWORD dst_unused:UNUSED_PAD src0_sel:WORD_1 src1_sel:WORD_1
	v_lshrrev_b32_e32 v16, 16, v16
	v_fma_f16 v35, v36, s8, v35
	v_fma_f16 v31, v36, s8, v31
	v_fma_f16 v34, v34, -0.5, v16
	v_sub_f16_e32 v36, v22, v28
	v_fma_f16 v37, v36, s5, v34
	v_sub_f16_e32 v38, v24, v26
	v_sub_f16_sdwa v39, v22, v24 dst_sel:DWORD dst_unused:UNUSED_PAD src0_sel:WORD_1 src1_sel:WORD_1
	v_sub_f16_sdwa v40, v28, v26 dst_sel:DWORD dst_unused:UNUSED_PAD src0_sel:WORD_1 src1_sel:WORD_1
	v_fma_f16 v34, v36, s7, v34
	v_fma_f16 v37, v38, s4, v37
	v_add_f16_e32 v39, v39, v40
	v_fma_f16 v34, v38, s6, v34
	ds_read_b32 v29, v19 offset:720
	v_fma_f16 v37, v39, s8, v37
	v_fma_f16 v34, v39, s8, v34
	v_add_f16_sdwa v39, v22, v28 dst_sel:DWORD dst_unused:UNUSED_PAD src0_sel:WORD_1 src1_sel:WORD_1
	v_fma_f16 v16, v39, -0.5, v16
	v_pk_add_f16 v33, v33, v24
	v_fma_f16 v39, v38, s7, v16
	v_sub_f16_sdwa v22, v24, v22 dst_sel:DWORD dst_unused:UNUSED_PAD src0_sel:WORD_1 src1_sel:WORD_1
	v_sub_f16_sdwa v24, v26, v28 dst_sel:DWORD dst_unused:UNUSED_PAD src0_sel:WORD_1 src1_sel:WORD_1
	v_fma_f16 v16, v38, s5, v16
	v_fma_f16 v39, v36, s4, v39
	v_add_f16_e32 v22, v22, v24
	v_fma_f16 v16, v36, s6, v16
	v_fma_f16 v24, v22, s8, v39
	v_fma_f16 v16, v22, s8, v16
	v_add_f16_e32 v22, v25, v27
	v_pk_add_f16 v33, v33, v26
	v_fma_f16 v22, v22, -0.5, v21
	s_waitcnt lgkmcnt(0)
	v_sub_f16_sdwa v26, v23, v29 dst_sel:DWORD dst_unused:UNUSED_PAD src0_sel:WORD_1 src1_sel:WORD_1
	v_pk_add_f16 v33, v33, v28
	v_fma_f16 v28, v26, s7, v22
	v_sub_f16_sdwa v36, v25, v27 dst_sel:DWORD dst_unused:UNUSED_PAD src0_sel:WORD_1 src1_sel:WORD_1
	v_sub_f16_e32 v38, v29, v27
	v_sub_f16_e32 v39, v23, v25
	v_fma_f16 v22, v26, s5, v22
	v_fma_f16 v28, v36, s6, v28
	v_add_f16_e32 v38, v39, v38
	v_fma_f16 v22, v36, s4, v22
	v_fma_f16 v28, v38, s8, v28
	;; [unrolled: 1-line block ×3, first 2 shown]
	v_add_f16_e32 v38, v23, v29
	v_fma_f16 v38, v38, -0.5, v21
	v_fma_f16 v39, v36, s5, v38
	v_sub_f16_e32 v40, v27, v29
	v_sub_f16_e32 v41, v25, v23
	v_fma_f16 v36, v36, s7, v38
	v_fma_f16 v39, v26, s6, v39
	v_add_f16_e32 v40, v41, v40
	v_fma_f16 v26, v26, s4, v36
	v_pk_add_f16 v36, v21, v23
	v_add_f16_sdwa v38, v25, v27 dst_sel:DWORD dst_unused:UNUSED_PAD src0_sel:WORD_1 src1_sel:WORD_1
	v_lshrrev_b32_e32 v21, 16, v21
	v_fma_f16 v39, v40, s8, v39
	v_fma_f16 v26, v40, s8, v26
	v_fma_f16 v38, v38, -0.5, v21
	v_sub_f16_e32 v40, v23, v29
	v_fma_f16 v41, v40, s5, v38
	v_sub_f16_e32 v42, v25, v27
	v_sub_f16_sdwa v43, v23, v25 dst_sel:DWORD dst_unused:UNUSED_PAD src0_sel:WORD_1 src1_sel:WORD_1
	v_sub_f16_sdwa v44, v29, v27 dst_sel:DWORD dst_unused:UNUSED_PAD src0_sel:WORD_1 src1_sel:WORD_1
	v_fma_f16 v38, v40, s7, v38
	v_fma_f16 v41, v42, s4, v41
	v_add_f16_e32 v43, v43, v44
	v_fma_f16 v38, v42, s6, v38
	v_fma_f16 v41, v43, s8, v41
	v_fma_f16 v38, v43, s8, v38
	v_add_f16_sdwa v43, v23, v29 dst_sel:DWORD dst_unused:UNUSED_PAD src0_sel:WORD_1 src1_sel:WORD_1
	v_fma_f16 v21, v43, -0.5, v21
	v_pk_add_f16 v36, v36, v25
	v_fma_f16 v43, v42, s7, v21
	v_sub_f16_sdwa v23, v25, v23 dst_sel:DWORD dst_unused:UNUSED_PAD src0_sel:WORD_1 src1_sel:WORD_1
	v_sub_f16_sdwa v25, v27, v29 dst_sel:DWORD dst_unused:UNUSED_PAD src0_sel:WORD_1 src1_sel:WORD_1
	v_fma_f16 v21, v42, s5, v21
	v_fma_f16 v43, v40, s4, v43
	v_add_f16_e32 v23, v23, v25
	v_fma_f16 v21, v40, s6, v21
	v_fma_f16 v25, v23, s8, v43
	;; [unrolled: 1-line block ×3, first 2 shown]
	v_mul_f16_e32 v23, 0xb8b4, v41
	s_movk_i32 s9, 0x3a79
	v_pk_add_f16 v36, v36, v27
	v_fma_f16 v23, v28, s9, v23
	v_mul_f16_e32 v28, 0x38b4, v28
	v_pk_add_f16 v36, v36, v29
	v_mul_f16_e32 v29, 0xbb9c, v25
	v_mul_f16_e32 v42, 0xbb9c, v21
	s_mov_b32 s14, 0xb4f2
	v_mul_f16_e32 v44, 0xb8b4, v38
	s_mov_b32 s15, 0xba79
	v_fma_f16 v28, v41, s9, v28
	v_mul_f16_e32 v25, 0x34f2, v25
	v_mul_f16_e32 v21, 0xb4f2, v21
	;; [unrolled: 1-line block ×3, first 2 shown]
	v_add_f16_e32 v27, v32, v23
	v_fma_f16 v29, v39, s8, v29
	v_fma_f16 v42, v26, s14, v42
	v_fma_f16 v44, v22, s15, v44
	v_add_f16_e32 v41, v37, v28
	v_fma_f16 v25, v39, s5, v25
	v_fma_f16 v21, v26, s5, v21
	;; [unrolled: 1-line block ×3, first 2 shown]
	v_mad_u32_u24 v15, v5, 36, v19
	v_add_f16_e32 v40, v35, v29
	v_add_f16_e32 v43, v31, v42
	v_pk_add_f16 v46, v33, v36
	v_add_f16_e32 v39, v24, v25
	v_add_f16_e32 v26, v16, v21
	;; [unrolled: 1-line block ×3, first 2 shown]
	v_sub_f16_e32 v16, v16, v21
	v_sub_f16_e32 v21, v34, v22
	v_pack_b32_f16 v22, v27, v41
	v_add_f16_e32 v45, v30, v44
	v_sub_f16_e32 v24, v24, v25
	s_waitcnt lgkmcnt(0)
	; wave barrier
	ds_write2_b32 v15, v46, v22 offset1:1
	v_pack_b32_f16 v22, v43, v26
	v_pack_b32_f16 v25, v40, v39
	v_sub_f16_e32 v23, v32, v23
	v_sub_f16_e32 v29, v35, v29
	;; [unrolled: 1-line block ×5, first 2 shown]
	ds_write2_b32 v15, v25, v22 offset0:2 offset1:3
	v_pk_add_f16 v22, v33, v36 neg_lo:[0,1] neg_hi:[0,1]
	v_pack_b32_f16 v25, v45, v38
	ds_write2_b32 v15, v25, v22 offset0:4 offset1:5
	v_pack_b32_f16 v22, v29, v24
	v_pack_b32_f16 v23, v23, v28
	;; [unrolled: 1-line block ×4, first 2 shown]
	ds_write2_b32 v15, v23, v22 offset0:6 offset1:7
	ds_write2_b32 v15, v16, v21 offset0:8 offset1:9
	v_add_u32_e32 v15, -10, v5
	v_cmp_gt_u32_e64 s[0:1], 10, v5
	v_cndmask_b32_e64 v15, v15, v5, s[0:1]
	v_mul_i32_i24_e32 v21, 9, v15
	v_mov_b32_e32 v22, 0
	v_lshlrev_b64 v[21:22], 2, v[21:22]
	v_mov_b32_e32 v16, s13
	v_add_co_u32_e64 v21, s[0:1], s12, v21
	v_addc_co_u32_e64 v22, s[0:1], v16, v22, s[0:1]
	s_waitcnt lgkmcnt(0)
	; wave barrier
	s_waitcnt lgkmcnt(0)
	global_load_dwordx4 v[25:28], v[21:22], off
	global_load_dwordx4 v[29:32], v[21:22], off offset:16
	global_load_dword v37, v[21:22], off offset:32
	v_lshl_add_u32 v23, v9, 2, v0
	ds_read_b32 v38, v17
	v_lshl_add_u32 v24, v7, 2, v0
	v_lshl_add_u32 v22, v11, 2, v0
	;; [unrolled: 1-line block ×3, first 2 shown]
	ds_read_b32 v39, v23
	ds_read_b32 v40, v22
	;; [unrolled: 1-line block ×3, first 2 shown]
	ds_read2_b32 v[33:34], v19 offset0:100 offset1:120
	ds_read2_b32 v[35:36], v19 offset0:140 offset1:160
	ds_read_b32 v42, v24
	ds_read_b32 v43, v19 offset:720
	s_waitcnt lgkmcnt(7)
	v_lshrrev_b32_e32 v44, 16, v38
	s_waitcnt lgkmcnt(3)
	v_lshrrev_b32_e32 v45, 16, v34
	;; [unrolled: 2-line block ×4, first 2 shown]
	v_lshrrev_b32_e32 v47, 16, v36
	s_waitcnt lgkmcnt(0)
	v_lshrrev_b32_e32 v48, 16, v43
	v_cmp_lt_u32_e64 s[0:1], 9, v5
	v_lshlrev_b64 v[13:14], 2, v[13:14]
	v_lshlrev_b32_e32 v15, 2, v15
	v_lshlrev_b64 v[11:12], 2, v[11:12]
	s_waitcnt lgkmcnt(0)
	; wave barrier
	v_lshlrev_b64 v[9:10], 2, v[9:10]
	v_lshlrev_b64 v[7:8], 2, v[7:8]
	s_waitcnt vmcnt(2)
	v_mul_f16_sdwa v50, v25, v49 dst_sel:DWORD dst_unused:UNUSED_PAD src0_sel:WORD_1 src1_sel:DWORD
	v_fma_f16 v50, v25, v42, v50
	v_mul_f16_sdwa v42, v25, v42 dst_sel:DWORD dst_unused:UNUSED_PAD src0_sel:WORD_1 src1_sel:DWORD
	v_fma_f16 v25, v25, v49, -v42
	v_lshrrev_b32_e32 v42, 16, v39
	v_mul_f16_sdwa v49, v26, v42 dst_sel:DWORD dst_unused:UNUSED_PAD src0_sel:WORD_1 src1_sel:DWORD
	v_fma_f16 v49, v26, v39, v49
	v_mul_f16_sdwa v39, v26, v39 dst_sel:DWORD dst_unused:UNUSED_PAD src0_sel:WORD_1 src1_sel:DWORD
	v_fma_f16 v26, v26, v42, -v39
	v_lshrrev_b32_e32 v39, 16, v40
	;; [unrolled: 5-line block ×4, first 2 shown]
	s_waitcnt vmcnt(1)
	v_mul_f16_sdwa v41, v29, v39 dst_sel:DWORD dst_unused:UNUSED_PAD src0_sel:WORD_1 src1_sel:DWORD
	v_fma_f16 v41, v29, v33, v41
	v_mul_f16_sdwa v33, v29, v33 dst_sel:DWORD dst_unused:UNUSED_PAD src0_sel:WORD_1 src1_sel:DWORD
	v_fma_f16 v29, v29, v39, -v33
	v_mul_f16_sdwa v33, v45, v30 dst_sel:DWORD dst_unused:UNUSED_PAD src0_sel:DWORD src1_sel:WORD_1
	v_fma_f16 v33, v34, v30, v33
	v_mul_f16_sdwa v34, v34, v30 dst_sel:DWORD dst_unused:UNUSED_PAD src0_sel:DWORD src1_sel:WORD_1
	v_fma_f16 v30, v45, v30, -v34
	v_mul_f16_sdwa v34, v46, v31 dst_sel:DWORD dst_unused:UNUSED_PAD src0_sel:DWORD src1_sel:WORD_1
	v_fma_f16 v34, v35, v31, v34
	v_mul_f16_sdwa v35, v35, v31 dst_sel:DWORD dst_unused:UNUSED_PAD src0_sel:DWORD src1_sel:WORD_1
	;; [unrolled: 4-line block ×3, first 2 shown]
	v_fma_f16 v32, v47, v32, -v36
	s_waitcnt vmcnt(0)
	v_mul_f16_sdwa v36, v48, v37 dst_sel:DWORD dst_unused:UNUSED_PAD src0_sel:DWORD src1_sel:WORD_1
	v_mul_f16_sdwa v39, v43, v37 dst_sel:DWORD dst_unused:UNUSED_PAD src0_sel:DWORD src1_sel:WORD_1
	v_fma_f16 v36, v43, v37, v36
	v_fma_f16 v37, v48, v37, -v39
	v_add_f16_e32 v39, v38, v49
	v_add_f16_e32 v39, v39, v40
	;; [unrolled: 1-line block ×5, first 2 shown]
	v_fma_f16 v39, v39, -0.5, v38
	v_sub_f16_e32 v45, v26, v32
	v_fma_f16 v46, v45, s7, v39
	v_sub_f16_e32 v47, v28, v30
	v_sub_f16_e32 v48, v49, v40
	;; [unrolled: 1-line block ×3, first 2 shown]
	v_fma_f16 v39, v45, s5, v39
	v_fma_f16 v46, v47, s6, v46
	v_add_f16_e32 v48, v48, v51
	v_fma_f16 v39, v47, s4, v39
	v_fma_f16 v46, v48, s8, v46
	;; [unrolled: 1-line block ×3, first 2 shown]
	v_add_f16_e32 v39, v49, v35
	v_fma_f16 v38, v39, -0.5, v38
	v_fma_f16 v39, v47, s5, v38
	v_sub_f16_e32 v51, v40, v49
	v_sub_f16_e32 v52, v33, v35
	v_fma_f16 v38, v47, s7, v38
	v_add_f16_e32 v51, v51, v52
	v_fma_f16 v38, v45, s4, v38
	v_fma_f16 v39, v45, s6, v39
	;; [unrolled: 1-line block ×3, first 2 shown]
	v_add_f16_e32 v38, v44, v26
	v_add_f16_e32 v38, v38, v28
	;; [unrolled: 1-line block ×5, first 2 shown]
	v_fma_f16 v38, v38, -0.5, v44
	v_sub_f16_e32 v35, v49, v35
	v_fma_f16 v52, v51, s8, v39
	v_fma_f16 v39, v35, s5, v38
	v_sub_f16_e32 v33, v40, v33
	v_sub_f16_e32 v40, v26, v28
	;; [unrolled: 1-line block ×3, first 2 shown]
	v_fma_f16 v38, v35, s7, v38
	v_add_f16_e32 v40, v40, v49
	v_fma_f16 v38, v33, s6, v38
	v_fma_f16 v51, v40, s8, v38
	v_add_f16_e32 v38, v26, v32
	v_fma_f16 v38, v38, -0.5, v44
	v_sub_f16_e32 v26, v28, v26
	v_sub_f16_e32 v28, v30, v32
	v_add_f16_e32 v26, v26, v28
	v_fma_f16 v28, v33, s5, v38
	v_fma_f16 v39, v33, s4, v39
	;; [unrolled: 1-line block ×6, first 2 shown]
	v_add_f16_e32 v28, v41, v34
	v_fma_f16 v39, v35, s4, v39
	v_fma_f16 v28, v28, -0.5, v50
	v_sub_f16_e32 v32, v27, v37
	v_fma_f16 v30, v26, s8, v39
	v_fma_f16 v33, v32, s7, v28
	v_sub_f16_e32 v35, v29, v31
	v_sub_f16_e32 v38, v42, v41
	;; [unrolled: 1-line block ×3, first 2 shown]
	v_fma_f16 v28, v32, s5, v28
	v_fma_f16 v33, v35, s6, v33
	v_add_f16_e32 v38, v38, v39
	v_fma_f16 v28, v35, s4, v28
	v_add_f16_e32 v26, v50, v42
	v_fma_f16 v33, v38, s8, v33
	v_fma_f16 v28, v38, s8, v28
	v_add_f16_e32 v38, v42, v36
	v_add_f16_e32 v26, v26, v41
	v_fma_f16 v38, v38, -0.5, v50
	v_add_f16_e32 v26, v26, v34
	v_fma_f16 v39, v35, s5, v38
	v_sub_f16_e32 v40, v41, v42
	v_sub_f16_e32 v50, v34, v36
	v_fma_f16 v35, v35, s7, v38
	v_add_f16_e32 v38, v29, v31
	v_add_f16_e32 v26, v26, v36
	v_fma_f16 v39, v32, s6, v39
	v_add_f16_e32 v40, v40, v50
	v_fma_f16 v32, v32, s4, v35
	v_fma_f16 v38, v38, -0.5, v25
	v_sub_f16_e32 v36, v42, v36
	v_fma_f16 v39, v40, s8, v39
	v_fma_f16 v32, v40, s8, v32
	;; [unrolled: 1-line block ×3, first 2 shown]
	v_sub_f16_e32 v34, v41, v34
	v_sub_f16_e32 v41, v27, v29
	;; [unrolled: 1-line block ×3, first 2 shown]
	v_fma_f16 v38, v36, s7, v38
	v_fma_f16 v40, v34, s4, v40
	v_add_f16_e32 v41, v41, v42
	v_fma_f16 v38, v34, s6, v38
	v_fma_f16 v40, v41, s8, v40
	;; [unrolled: 1-line block ×3, first 2 shown]
	v_add_f16_e32 v38, v27, v37
	v_add_f16_e32 v35, v25, v27
	v_fma_f16 v25, v38, -0.5, v25
	v_add_f16_e32 v35, v35, v29
	v_fma_f16 v38, v34, s7, v25
	v_sub_f16_e32 v27, v29, v27
	v_sub_f16_e32 v29, v31, v37
	v_fma_f16 v25, v34, s5, v25
	v_fma_f16 v38, v36, s4, v38
	v_add_f16_e32 v27, v27, v29
	v_fma_f16 v25, v36, s6, v25
	v_fma_f16 v29, v27, s8, v38
	;; [unrolled: 1-line block ×3, first 2 shown]
	v_mul_f16_e32 v25, 0xb8b4, v40
	v_add_f16_e32 v35, v35, v31
	v_fma_f16 v31, v33, s9, v25
	v_mul_f16_e32 v25, 0xbb9c, v29
	v_fma_f16 v34, v39, s8, v25
	v_mul_f16_e32 v25, 0xbb9c, v27
	v_mul_f16_e32 v27, 0xb4f2, v27
	v_fma_f16 v58, v32, s5, v27
	v_mul_f16_e32 v27, 0xba79, v41
	v_fma_f16 v36, v32, s14, v25
	;; [unrolled: 2-line block ×3, first 2 shown]
	v_add_f16_e32 v50, v46, v31
	v_fma_f16 v53, v28, s15, v25
	v_mul_f16_e32 v40, 0x3a79, v40
	v_add_f16_e32 v32, v51, v41
	v_sub_f16_e32 v28, v46, v31
	v_sub_f16_e32 v31, v51, v41
	v_mov_b32_e32 v41, 0x190
	v_add_f16_e32 v35, v35, v37
	v_fma_f16 v55, v33, s4, v40
	v_mul_f16_e32 v29, 0x34f2, v29
	v_cndmask_b32_e64 v41, 0, v41, s[0:1]
	v_add_f16_e32 v42, v43, v26
	v_add_f16_e32 v54, v47, v35
	;; [unrolled: 1-line block ×3, first 2 shown]
	v_fma_f16 v57, v39, s5, v29
	v_add_u32_e32 v41, 0, v41
	v_add_co_u32_e64 v13, s[0:1], s12, v13
	v_add_f16_e32 v37, v52, v34
	v_add_f16_e32 v38, v45, v36
	;; [unrolled: 1-line block ×4, first 2 shown]
	v_add3_u32 v15, v41, v15, v20
	v_pack_b32_f16 v20, v42, v54
	v_pack_b32_f16 v41, v50, v56
	v_addc_co_u32_e64 v14, s[0:1], v16, v14, s[0:1]
	v_add_f16_e32 v25, v48, v53
	v_sub_f16_e32 v33, v43, v26
	v_sub_f16_e32 v26, v45, v36
	;; [unrolled: 1-line block ×3, first 2 shown]
	ds_write2_b32 v15, v20, v41 offset1:10
	v_pack_b32_f16 v20, v37, v39
	v_pack_b32_f16 v37, v38, v40
	v_add_co_u32_e64 v11, s[0:1], s12, v11
	v_sub_f16_e32 v29, v52, v34
	v_sub_f16_e32 v34, v49, v55
	;; [unrolled: 1-line block ×3, first 2 shown]
	ds_write2_b32 v15, v20, v37 offset0:20 offset1:30
	v_pack_b32_f16 v20, v25, v32
	v_pack_b32_f16 v25, v33, v36
	v_addc_co_u32_e64 v12, s[0:1], v16, v12, s[0:1]
	v_sub_f16_e32 v27, v48, v53
	v_sub_f16_e32 v30, v44, v58
	ds_write2_b32 v15, v20, v25 offset0:40 offset1:50
	v_pack_b32_f16 v20, v28, v34
	v_pack_b32_f16 v25, v29, v35
	v_add_co_u32_e64 v9, s[0:1], s12, v9
	ds_write2_b32 v15, v20, v25 offset0:60 offset1:70
	v_pack_b32_f16 v20, v26, v30
	v_pack_b32_f16 v25, v27, v31
	v_addc_co_u32_e64 v10, s[0:1], v16, v10, s[0:1]
	ds_write2_b32 v15, v20, v25 offset0:80 offset1:90
	v_add_co_u32_e64 v7, s[0:1], s12, v7
	v_lshlrev_b64 v[25:26], 2, v[5:6]
	v_addc_co_u32_e64 v8, s[0:1], v16, v8, s[0:1]
	v_add_co_u32_e64 v15, s[0:1], s12, v25
	s_waitcnt lgkmcnt(0)
	; wave barrier
	s_waitcnt lgkmcnt(0)
	global_load_dword v20, v[13:14], off offset:360
	v_addc_co_u32_e64 v16, s[0:1], v16, v26, s[0:1]
	global_load_dword v6, v[15:16], off offset:360
	global_load_dword v29, v[11:12], off offset:360
	;; [unrolled: 1-line block ×4, first 2 shown]
	ds_read_b32 v32, v23
	ds_read_b32 v33, v22
	;; [unrolled: 1-line block ×3, first 2 shown]
	ds_read_b32 v35, v19 offset:720
	ds_read_b32 v36, v24
	ds_read_b32 v37, v17
	ds_read2_b32 v[25:26], v19 offset0:100 offset1:120
	ds_read2_b32 v[27:28], v19 offset0:140 offset1:160
	s_mov_b32 s4, 0xffff
	s_waitcnt lgkmcnt(0)
	; wave barrier
	s_waitcnt lgkmcnt(0)
	v_cmp_ne_u32_e64 s[0:1], 0, v5
	s_waitcnt vmcnt(4)
	v_pk_mul_f16 v38, v20, v35 op_sel:[0,1]
	v_pk_fma_f16 v39, v20, v35, v38 op_sel:[0,0,1] op_sel_hi:[1,1,0]
	v_pk_fma_f16 v20, v20, v35, v38 op_sel:[0,0,1] op_sel_hi:[1,0,0] neg_lo:[1,0,0] neg_hi:[1,0,0]
	v_bfi_b32 v20, s4, v39, v20
	s_waitcnt vmcnt(2)
	v_pk_mul_f16 v35, v29, v28 op_sel:[0,1]
	v_pk_fma_f16 v38, v29, v28, v35 op_sel:[0,0,1] op_sel_hi:[1,1,0]
	v_pk_fma_f16 v28, v29, v28, v35 op_sel:[0,0,1] op_sel_hi:[1,0,0] neg_lo:[1,0,0] neg_hi:[1,0,0]
	v_bfi_b32 v28, s4, v38, v28
	v_pk_add_f16 v28, v33, v28 neg_lo:[0,1] neg_hi:[0,1]
	v_pk_fma_f16 v29, v33, 2.0, v28 op_sel_hi:[1,0,1] neg_lo:[0,0,1] neg_hi:[0,0,1]
	s_waitcnt vmcnt(1)
	v_pk_mul_f16 v33, v30, v27 op_sel:[0,1]
	v_pk_fma_f16 v35, v30, v27, v33 op_sel:[0,0,1] op_sel_hi:[1,1,0]
	v_pk_fma_f16 v27, v30, v27, v33 op_sel:[0,0,1] op_sel_hi:[1,0,0] neg_lo:[1,0,0] neg_hi:[1,0,0]
	v_bfi_b32 v27, s4, v35, v27
	v_pk_add_f16 v27, v32, v27 neg_lo:[0,1] neg_hi:[0,1]
	v_pk_fma_f16 v30, v32, 2.0, v27 op_sel_hi:[1,0,1] neg_lo:[0,0,1] neg_hi:[0,0,1]
	s_waitcnt vmcnt(0)
	v_pk_mul_f16 v32, v31, v26 op_sel:[0,1]
	v_pk_fma_f16 v33, v31, v26, v32 op_sel:[0,0,1] op_sel_hi:[1,1,0]
	v_pk_fma_f16 v26, v31, v26, v32 op_sel:[0,0,1] op_sel_hi:[1,0,0] neg_lo:[1,0,0] neg_hi:[1,0,0]
	v_pk_mul_f16 v32, v6, v25 op_sel:[0,1]
	v_bfi_b32 v26, s4, v33, v26
	v_pk_fma_f16 v33, v6, v25, v32 op_sel:[0,0,1] op_sel_hi:[1,1,0]
	v_pk_fma_f16 v6, v6, v25, v32 op_sel:[0,0,1] op_sel_hi:[1,0,0] neg_lo:[1,0,0] neg_hi:[1,0,0]
	v_bfi_b32 v6, s4, v33, v6
	v_pk_add_f16 v6, v37, v6 neg_lo:[0,1] neg_hi:[0,1]
	v_pk_add_f16 v20, v34, v20 neg_lo:[0,1] neg_hi:[0,1]
	;; [unrolled: 1-line block ×3, first 2 shown]
	v_pk_fma_f16 v25, v37, 2.0, v6 op_sel_hi:[1,0,1] neg_lo:[0,0,1] neg_hi:[0,0,1]
	v_pk_fma_f16 v34, v34, 2.0, v20 op_sel_hi:[1,0,1] neg_lo:[0,0,1] neg_hi:[0,0,1]
	;; [unrolled: 1-line block ×3, first 2 shown]
	ds_write2_b32 v19, v25, v6 offset1:100
	ds_write2_b32 v24, v31, v26 offset1:100
	ds_write2_b32 v23, v30, v27 offset1:100
	ds_write2_b32 v22, v29, v28 offset1:100
	ds_write2_b32 v21, v34, v20 offset1:100
	s_waitcnt lgkmcnt(0)
	; wave barrier
	s_waitcnt lgkmcnt(0)
	ds_read_b32 v25, v17
	v_sub_u32_e32 v6, v0, v18
                                        ; implicit-def: $vgpr19
                                        ; implicit-def: $vgpr18
                                        ; implicit-def: $vgpr20
	s_and_saveexec_b64 s[6:7], s[0:1]
	s_xor_b64 s[0:1], exec, s[6:7]
	s_cbranch_execz .LBB0_14
; %bb.13:
	global_load_dword v15, v[15:16], off offset:760
	ds_read_b32 v16, v6 offset:800
	s_waitcnt lgkmcnt(0)
	v_pk_add_f16 v18, v25, v16 neg_lo:[0,1] neg_hi:[0,1]
	v_pk_add_f16 v16, v16, v25
	v_bfi_b32 v19, s4, v18, v16
	v_bfi_b32 v16, s4, v16, v18
	v_pk_mul_f16 v18, v19, 0.5 op_sel_hi:[1,0]
	v_pk_mul_f16 v19, v16, 0.5 op_sel_hi:[1,0]
                                        ; implicit-def: $vgpr25
	s_waitcnt vmcnt(0)
	v_pk_mul_f16 v20, v15, v18 op_sel:[1,0]
	v_pk_mul_f16 v15, v15, v18 op_sel_hi:[0,1]
	v_pk_fma_f16 v16, v16, 0.5, v20 op_sel_hi:[1,0,1]
	v_sub_f16_e32 v18, v19, v20
	v_sub_f16_sdwa v20, v20, v19 dst_sel:DWORD dst_unused:UNUSED_PAD src0_sel:WORD_1 src1_sel:WORD_1
	v_pk_add_f16 v19, v16, v15 op_sel:[0,1] op_sel_hi:[1,0]
	v_pk_add_f16 v16, v16, v15 op_sel:[0,1] op_sel_hi:[1,0] neg_lo:[0,1] neg_hi:[0,1]
	v_sub_f16_sdwa v18, v18, v15 dst_sel:DWORD dst_unused:UNUSED_PAD src0_sel:DWORD src1_sel:WORD_1
	v_bfi_b32 v19, s4, v19, v16
	v_sub_f16_e32 v20, v20, v15
.LBB0_14:
	s_andn2_saveexec_b64 s[0:1], s[0:1]
	s_cbranch_execz .LBB0_16
; %bb.15:
	ds_read_u16 v15, v0 offset:402
	s_waitcnt lgkmcnt(1)
	v_alignbit_b32 v16, s0, v25, 16
	v_pk_add_f16 v16, v16, v25
	v_sub_f16_sdwa v18, v25, v25 dst_sel:DWORD dst_unused:UNUSED_PAD src0_sel:DWORD src1_sel:WORD_1
	v_pack_b32_f16 v19, v16, 0
	s_waitcnt lgkmcnt(0)
	v_xor_b32_e32 v15, 0x8000, v15
	v_mov_b32_e32 v20, 0
	ds_write_b16 v0, v15 offset:402
.LBB0_16:
	s_or_b64 exec, exec, s[0:1]
	global_load_dword v15, v[7:8], off offset:760
	global_load_dword v16, v[9:10], off offset:760
	s_waitcnt lgkmcnt(0)
	global_load_dword v25, v[11:12], off offset:760
	ds_write_b16 v6, v20 offset:802
	ds_write_b32 v17, v19
	ds_write_b16 v6, v18 offset:800
	ds_read_b32 v7, v24
	ds_read_b32 v8, v6 offset:720
	global_load_dword v9, v[13:14], off offset:760
	s_mov_b32 s0, 0xffff
	s_waitcnt lgkmcnt(0)
	v_pk_add_f16 v10, v7, v8 neg_lo:[0,1] neg_hi:[0,1]
	v_pk_add_f16 v7, v7, v8
	v_bfi_b32 v8, s0, v10, v7
	v_bfi_b32 v7, s0, v7, v10
	v_pk_mul_f16 v8, v8, 0.5 op_sel_hi:[1,0]
	v_pk_mul_f16 v7, v7, 0.5 op_sel_hi:[1,0]
	s_waitcnt vmcnt(3)
	v_pk_fma_f16 v10, v15, v8, v7 op_sel:[1,0,0]
	v_pk_mul_f16 v11, v15, v8 op_sel_hi:[0,1]
	v_pk_fma_f16 v12, v15, v8, v7 op_sel:[1,0,0] neg_lo:[1,0,0] neg_hi:[1,0,0]
	v_pk_fma_f16 v7, v15, v8, v7 op_sel:[1,0,0] neg_lo:[0,0,1] neg_hi:[0,0,1]
	v_pk_add_f16 v8, v10, v11 op_sel:[0,1] op_sel_hi:[1,0]
	v_pk_add_f16 v10, v10, v11 op_sel:[0,1] op_sel_hi:[1,0] neg_lo:[0,1] neg_hi:[0,1]
	v_pk_add_f16 v12, v12, v11 op_sel:[0,1] op_sel_hi:[1,0] neg_lo:[0,1] neg_hi:[0,1]
	v_pk_add_f16 v7, v7, v11 op_sel:[0,1] op_sel_hi:[1,0] neg_lo:[0,1] neg_hi:[0,1]
	v_bfi_b32 v8, s0, v8, v10
	v_bfi_b32 v7, s0, v12, v7
	ds_write_b32 v24, v8
	ds_write_b32 v6, v7 offset:720
	ds_read_b32 v7, v23
	ds_read_b32 v8, v6 offset:640
	s_waitcnt lgkmcnt(0)
	v_pk_add_f16 v10, v7, v8 neg_lo:[0,1] neg_hi:[0,1]
	v_pk_add_f16 v7, v7, v8
	v_bfi_b32 v8, s0, v10, v7
	v_bfi_b32 v7, s0, v7, v10
	v_pk_mul_f16 v8, v8, 0.5 op_sel_hi:[1,0]
	v_pk_mul_f16 v7, v7, 0.5 op_sel_hi:[1,0]
	s_waitcnt vmcnt(2)
	v_pk_fma_f16 v10, v16, v8, v7 op_sel:[1,0,0]
	v_pk_mul_f16 v11, v16, v8 op_sel_hi:[0,1]
	v_pk_fma_f16 v12, v16, v8, v7 op_sel:[1,0,0] neg_lo:[1,0,0] neg_hi:[1,0,0]
	v_pk_fma_f16 v7, v16, v8, v7 op_sel:[1,0,0] neg_lo:[0,0,1] neg_hi:[0,0,1]
	v_pk_add_f16 v8, v10, v11 op_sel:[0,1] op_sel_hi:[1,0]
	v_pk_add_f16 v10, v10, v11 op_sel:[0,1] op_sel_hi:[1,0] neg_lo:[0,1] neg_hi:[0,1]
	v_pk_add_f16 v12, v12, v11 op_sel:[0,1] op_sel_hi:[1,0] neg_lo:[0,1] neg_hi:[0,1]
	v_pk_add_f16 v7, v7, v11 op_sel:[0,1] op_sel_hi:[1,0] neg_lo:[0,1] neg_hi:[0,1]
	v_bfi_b32 v8, s0, v8, v10
	v_bfi_b32 v7, s0, v12, v7
	ds_write_b32 v23, v8
	ds_write_b32 v6, v7 offset:640
	ds_read_b32 v7, v22
	ds_read_b32 v8, v6 offset:560
	;; [unrolled: 22-line block ×3, first 2 shown]
	s_waitcnt lgkmcnt(0)
	v_pk_add_f16 v10, v7, v8 neg_lo:[0,1] neg_hi:[0,1]
	v_pk_add_f16 v7, v7, v8
	v_bfi_b32 v8, s0, v10, v7
	v_bfi_b32 v7, s0, v7, v10
	v_pk_mul_f16 v8, v8, 0.5 op_sel_hi:[1,0]
	v_pk_mul_f16 v7, v7, 0.5 op_sel_hi:[1,0]
	s_waitcnt vmcnt(0)
	v_pk_fma_f16 v10, v9, v8, v7 op_sel:[1,0,0]
	v_pk_mul_f16 v11, v9, v8 op_sel_hi:[0,1]
	v_pk_fma_f16 v12, v9, v8, v7 op_sel:[1,0,0] neg_lo:[1,0,0] neg_hi:[1,0,0]
	v_pk_fma_f16 v7, v9, v8, v7 op_sel:[1,0,0] neg_lo:[0,0,1] neg_hi:[0,0,1]
	v_pk_add_f16 v8, v10, v11 op_sel:[0,1] op_sel_hi:[1,0]
	v_pk_add_f16 v9, v10, v11 op_sel:[0,1] op_sel_hi:[1,0] neg_lo:[0,1] neg_hi:[0,1]
	v_pk_add_f16 v10, v12, v11 op_sel:[0,1] op_sel_hi:[1,0] neg_lo:[0,1] neg_hi:[0,1]
	v_pk_add_f16 v7, v7, v11 op_sel:[0,1] op_sel_hi:[1,0] neg_lo:[0,1] neg_hi:[0,1]
	v_bfi_b32 v8, s0, v8, v9
	v_bfi_b32 v7, s0, v10, v7
	ds_write_b32 v21, v8
	ds_write_b32 v6, v7 offset:480
	s_waitcnt lgkmcnt(0)
	; wave barrier
	s_waitcnt lgkmcnt(0)
	s_and_saveexec_b64 s[0:1], vcc
	s_cbranch_execz .LBB0_19
; %bb.17:
	v_mul_lo_u32 v6, s3, v3
	v_mul_lo_u32 v4, s2, v4
	v_mad_u64_u32 v[7:8], s[0:1], s2, v3, 0
	v_lshl_add_u32 v3, v5, 2, v0
	v_mov_b32_e32 v0, s11
	v_add3_u32 v8, v8, v4, v6
	v_lshlrev_b64 v[7:8], 2, v[7:8]
	v_mov_b32_e32 v6, 0
	v_add_co_u32_e32 v4, vcc, s10, v7
	v_addc_co_u32_e32 v7, vcc, v0, v8, vcc
	v_lshlrev_b64 v[0:1], 2, v[1:2]
	ds_read2_b32 v[9:10], v3 offset1:20
	v_add_co_u32_e32 v0, vcc, v4, v0
	v_addc_co_u32_e32 v1, vcc, v7, v1, vcc
	v_lshlrev_b64 v[7:8], 2, v[5:6]
	v_add_co_u32_e32 v7, vcc, v0, v7
	v_addc_co_u32_e32 v8, vcc, v1, v8, vcc
	s_waitcnt lgkmcnt(0)
	global_store_dword v[7:8], v9, off
	v_add_u32_e32 v7, 20, v5
	v_mov_b32_e32 v8, v6
	v_lshlrev_b64 v[7:8], 2, v[7:8]
	v_add_co_u32_e32 v7, vcc, v0, v7
	v_addc_co_u32_e32 v8, vcc, v1, v8, vcc
	global_store_dword v[7:8], v10, off
	v_add_u32_e32 v7, 40, v5
	v_mov_b32_e32 v8, v6
	ds_read2_b32 v[9:10], v3 offset0:40 offset1:60
	v_lshlrev_b64 v[7:8], 2, v[7:8]
	v_add_co_u32_e32 v7, vcc, v0, v7
	v_addc_co_u32_e32 v8, vcc, v1, v8, vcc
	s_waitcnt lgkmcnt(0)
	global_store_dword v[7:8], v9, off
	v_add_u32_e32 v7, 60, v5
	v_mov_b32_e32 v8, v6
	v_lshlrev_b64 v[7:8], 2, v[7:8]
	v_add_co_u32_e32 v7, vcc, v0, v7
	v_addc_co_u32_e32 v8, vcc, v1, v8, vcc
	global_store_dword v[7:8], v10, off
	v_add_u32_e32 v7, 0x50, v5
	v_mov_b32_e32 v8, v6
	ds_read2_b32 v[9:10], v3 offset0:80 offset1:100
	;; [unrolled: 14-line block ×4, first 2 shown]
	v_lshlrev_b64 v[7:8], 2, v[7:8]
	v_add_co_u32_e32 v7, vcc, v0, v7
	v_addc_co_u32_e32 v8, vcc, v1, v8, vcc
	s_waitcnt lgkmcnt(0)
	global_store_dword v[7:8], v9, off
	v_add_u32_e32 v7, 0xb4, v5
	v_mov_b32_e32 v8, v6
	v_lshlrev_b64 v[6:7], 2, v[7:8]
	v_add_co_u32_e32 v6, vcc, v0, v6
	v_addc_co_u32_e32 v7, vcc, v1, v7, vcc
	v_cmp_eq_u32_e32 vcc, 19, v5
	global_store_dword v[6:7], v10, off
	s_and_b64 exec, exec, vcc
	s_cbranch_execz .LBB0_19
; %bb.18:
	ds_read_b32 v2, v3 offset:724
	s_waitcnt lgkmcnt(0)
	global_store_dword v[0:1], v2, off offset:800
.LBB0_19:
	s_endpgm
	.section	.rodata,"a",@progbits
	.p2align	6, 0x0
	.amdhsa_kernel fft_rtc_back_len200_factors_10_10_2_wgs_60_tpt_20_halfLds_half_op_CI_CI_unitstride_sbrr_R2C_dirReg
		.amdhsa_group_segment_fixed_size 0
		.amdhsa_private_segment_fixed_size 0
		.amdhsa_kernarg_size 104
		.amdhsa_user_sgpr_count 6
		.amdhsa_user_sgpr_private_segment_buffer 1
		.amdhsa_user_sgpr_dispatch_ptr 0
		.amdhsa_user_sgpr_queue_ptr 0
		.amdhsa_user_sgpr_kernarg_segment_ptr 1
		.amdhsa_user_sgpr_dispatch_id 0
		.amdhsa_user_sgpr_flat_scratch_init 0
		.amdhsa_user_sgpr_private_segment_size 0
		.amdhsa_uses_dynamic_stack 0
		.amdhsa_system_sgpr_private_segment_wavefront_offset 0
		.amdhsa_system_sgpr_workgroup_id_x 1
		.amdhsa_system_sgpr_workgroup_id_y 0
		.amdhsa_system_sgpr_workgroup_id_z 0
		.amdhsa_system_sgpr_workgroup_info 0
		.amdhsa_system_vgpr_workitem_id 0
		.amdhsa_next_free_vgpr 59
		.amdhsa_next_free_sgpr 28
		.amdhsa_reserve_vcc 1
		.amdhsa_reserve_flat_scratch 0
		.amdhsa_float_round_mode_32 0
		.amdhsa_float_round_mode_16_64 0
		.amdhsa_float_denorm_mode_32 3
		.amdhsa_float_denorm_mode_16_64 3
		.amdhsa_dx10_clamp 1
		.amdhsa_ieee_mode 1
		.amdhsa_fp16_overflow 0
		.amdhsa_exception_fp_ieee_invalid_op 0
		.amdhsa_exception_fp_denorm_src 0
		.amdhsa_exception_fp_ieee_div_zero 0
		.amdhsa_exception_fp_ieee_overflow 0
		.amdhsa_exception_fp_ieee_underflow 0
		.amdhsa_exception_fp_ieee_inexact 0
		.amdhsa_exception_int_div_zero 0
	.end_amdhsa_kernel
	.text
.Lfunc_end0:
	.size	fft_rtc_back_len200_factors_10_10_2_wgs_60_tpt_20_halfLds_half_op_CI_CI_unitstride_sbrr_R2C_dirReg, .Lfunc_end0-fft_rtc_back_len200_factors_10_10_2_wgs_60_tpt_20_halfLds_half_op_CI_CI_unitstride_sbrr_R2C_dirReg
                                        ; -- End function
	.section	.AMDGPU.csdata,"",@progbits
; Kernel info:
; codeLenInByte = 6484
; NumSgprs: 32
; NumVgprs: 59
; ScratchSize: 0
; MemoryBound: 0
; FloatMode: 240
; IeeeMode: 1
; LDSByteSize: 0 bytes/workgroup (compile time only)
; SGPRBlocks: 3
; VGPRBlocks: 14
; NumSGPRsForWavesPerEU: 32
; NumVGPRsForWavesPerEU: 59
; Occupancy: 4
; WaveLimiterHint : 1
; COMPUTE_PGM_RSRC2:SCRATCH_EN: 0
; COMPUTE_PGM_RSRC2:USER_SGPR: 6
; COMPUTE_PGM_RSRC2:TRAP_HANDLER: 0
; COMPUTE_PGM_RSRC2:TGID_X_EN: 1
; COMPUTE_PGM_RSRC2:TGID_Y_EN: 0
; COMPUTE_PGM_RSRC2:TGID_Z_EN: 0
; COMPUTE_PGM_RSRC2:TIDIG_COMP_CNT: 0
	.type	__hip_cuid_6a03c6ac0b144fa7,@object ; @__hip_cuid_6a03c6ac0b144fa7
	.section	.bss,"aw",@nobits
	.globl	__hip_cuid_6a03c6ac0b144fa7
__hip_cuid_6a03c6ac0b144fa7:
	.byte	0                               ; 0x0
	.size	__hip_cuid_6a03c6ac0b144fa7, 1

	.ident	"AMD clang version 19.0.0git (https://github.com/RadeonOpenCompute/llvm-project roc-6.4.0 25133 c7fe45cf4b819c5991fe208aaa96edf142730f1d)"
	.section	".note.GNU-stack","",@progbits
	.addrsig
	.addrsig_sym __hip_cuid_6a03c6ac0b144fa7
	.amdgpu_metadata
---
amdhsa.kernels:
  - .args:
      - .actual_access:  read_only
        .address_space:  global
        .offset:         0
        .size:           8
        .value_kind:     global_buffer
      - .offset:         8
        .size:           8
        .value_kind:     by_value
      - .actual_access:  read_only
        .address_space:  global
        .offset:         16
        .size:           8
        .value_kind:     global_buffer
      - .actual_access:  read_only
        .address_space:  global
        .offset:         24
        .size:           8
        .value_kind:     global_buffer
      - .actual_access:  read_only
        .address_space:  global
        .offset:         32
        .size:           8
        .value_kind:     global_buffer
      - .offset:         40
        .size:           8
        .value_kind:     by_value
      - .actual_access:  read_only
        .address_space:  global
        .offset:         48
        .size:           8
        .value_kind:     global_buffer
      - .actual_access:  read_only
        .address_space:  global
        .offset:         56
        .size:           8
        .value_kind:     global_buffer
      - .offset:         64
        .size:           4
        .value_kind:     by_value
      - .actual_access:  read_only
        .address_space:  global
        .offset:         72
        .size:           8
        .value_kind:     global_buffer
      - .actual_access:  read_only
        .address_space:  global
        .offset:         80
        .size:           8
        .value_kind:     global_buffer
      - .actual_access:  read_only
        .address_space:  global
        .offset:         88
        .size:           8
        .value_kind:     global_buffer
      - .actual_access:  write_only
        .address_space:  global
        .offset:         96
        .size:           8
        .value_kind:     global_buffer
    .group_segment_fixed_size: 0
    .kernarg_segment_align: 8
    .kernarg_segment_size: 104
    .language:       OpenCL C
    .language_version:
      - 2
      - 0
    .max_flat_workgroup_size: 60
    .name:           fft_rtc_back_len200_factors_10_10_2_wgs_60_tpt_20_halfLds_half_op_CI_CI_unitstride_sbrr_R2C_dirReg
    .private_segment_fixed_size: 0
    .sgpr_count:     32
    .sgpr_spill_count: 0
    .symbol:         fft_rtc_back_len200_factors_10_10_2_wgs_60_tpt_20_halfLds_half_op_CI_CI_unitstride_sbrr_R2C_dirReg.kd
    .uniform_work_group_size: 1
    .uses_dynamic_stack: false
    .vgpr_count:     59
    .vgpr_spill_count: 0
    .wavefront_size: 64
amdhsa.target:   amdgcn-amd-amdhsa--gfx906
amdhsa.version:
  - 1
  - 2
...

	.end_amdgpu_metadata
